;; amdgpu-corpus repo=ROCm/rocFFT kind=compiled arch=gfx1201 opt=O3
	.text
	.amdgcn_target "amdgcn-amd-amdhsa--gfx1201"
	.amdhsa_code_object_version 6
	.protected	fft_rtc_fwd_len336_factors_6_7_8_wgs_336_tpt_56_half_op_CI_CI_sbcc_twdbase5_3step ; -- Begin function fft_rtc_fwd_len336_factors_6_7_8_wgs_336_tpt_56_half_op_CI_CI_sbcc_twdbase5_3step
	.globl	fft_rtc_fwd_len336_factors_6_7_8_wgs_336_tpt_56_half_op_CI_CI_sbcc_twdbase5_3step
	.p2align	8
	.type	fft_rtc_fwd_len336_factors_6_7_8_wgs_336_tpt_56_half_op_CI_CI_sbcc_twdbase5_3step,@function
fft_rtc_fwd_len336_factors_6_7_8_wgs_336_tpt_56_half_op_CI_CI_sbcc_twdbase5_3step: ; @fft_rtc_fwd_len336_factors_6_7_8_wgs_336_tpt_56_half_op_CI_CI_sbcc_twdbase5_3step
; %bb.0:
	s_clause 0x1
	s_load_b256 s[4:11], s[0:1], 0x8
	s_load_b64 s[26:27], s[0:1], 0x28
	s_mov_b32 s2, ttmp9
	s_mov_b32 s3, exec_lo
	v_cmpx_gt_u32_e32 0x60, v0
	s_cbranch_execz .LBB0_2
; %bb.1:
	v_lshlrev_b32_e32 v1, 2, v0
	s_wait_kmcnt 0x0
	global_load_b32 v2, v1, s[4:5]
	v_add_nc_u32_e32 v1, 0, v1
	s_wait_loadcnt 0x0
	ds_store_b32 v1, v2 offset:8064
.LBB0_2:
	s_or_b32 exec_lo, exec_lo, s3
	s_mov_b32 s3, 0
	s_wait_kmcnt 0x0
	s_mov_b32 s4, 0xaaa80000
	s_movk_i32 s5, 0xaa
	s_mov_b32 s12, s3
	s_mov_b32 s13, s3
	s_load_b64 s[28:29], s[8:9], 0x8
	s_add_nc_u64 s[4:5], s[12:13], s[4:5]
	s_mov_b32 s17, s3
	s_add_co_i32 s5, s5, 0x2aaaaa00
	s_mov_b64 s[20:21], 0
	s_mul_u64 s[12:13], s[4:5], -6
	s_delay_alu instid0(SALU_CYCLE_1)
	s_mul_hi_u32 s15, s4, s13
	s_mul_i32 s14, s4, s13
	s_mul_hi_u32 s16, s4, s12
	s_mul_hi_u32 s18, s5, s12
	s_mul_i32 s12, s5, s12
	s_add_nc_u64 s[14:15], s[16:17], s[14:15]
	s_mul_hi_u32 s16, s5, s13
	s_add_co_u32 s12, s14, s12
	s_add_co_ci_u32 s12, s15, s18
	s_add_co_ci_u32 s15, s16, 0
	s_mul_i32 s14, s5, s13
	s_mov_b32 s13, s3
	s_delay_alu instid0(SALU_CYCLE_1) | instskip(SKIP_3) | instid1(VALU_DEP_1)
	s_add_nc_u64 s[12:13], s[12:13], s[14:15]
	s_wait_kmcnt 0x0
	s_add_nc_u64 s[14:15], s[28:29], -1
	v_add_co_u32 v1, s4, s4, s12
	s_cmp_lg_u32 s4, 0
	s_add_co_ci_u32 s17, s5, s13
	s_delay_alu instid0(VALU_DEP_1) | instskip(SKIP_3) | instid1(VALU_DEP_1)
	v_readfirstlane_b32 s16, v1
	s_mul_hi_u32 s5, s14, s17
	s_mul_i32 s4, s14, s17
	s_mov_b32 s13, s3
	s_mul_hi_u32 s12, s14, s16
	s_wait_alu 0xfffe
	s_add_nc_u64 s[4:5], s[12:13], s[4:5]
	s_mul_i32 s13, s15, s16
	s_mul_hi_u32 s16, s15, s16
	s_mul_hi_u32 s12, s15, s17
	s_wait_alu 0xfffe
	s_add_co_u32 s4, s4, s13
	s_add_co_ci_u32 s4, s5, s16
	s_add_co_ci_u32 s13, s12, 0
	s_mul_i32 s12, s15, s17
	s_mov_b32 s5, s3
	s_wait_alu 0xfffe
	s_add_nc_u64 s[4:5], s[4:5], s[12:13]
	s_wait_alu 0xfffe
	s_mul_u64 s[12:13], s[4:5], 6
	s_wait_alu 0xfffe
	v_sub_co_u32 v1, s12, s14, s12
	s_delay_alu instid0(VALU_DEP_1) | instskip(SKIP_1) | instid1(VALU_DEP_1)
	s_cmp_lg_u32 s12, 0
	s_sub_co_ci_u32 s16, s15, s13
	v_sub_co_u32 v2, s14, v1, 6
	s_delay_alu instid0(VALU_DEP_1) | instskip(SKIP_2) | instid1(VALU_DEP_2)
	s_cmp_lg_u32 s14, 0
	v_readfirstlane_b32 s18, v1
	s_sub_co_ci_u32 s14, s16, 0
	v_readfirstlane_b32 s12, v2
	s_delay_alu instid0(VALU_DEP_1)
	s_cmp_gt_u32 s12, 5
	s_add_nc_u64 s[12:13], s[4:5], 1
	s_cselect_b32 s17, -1, 0
	s_wait_alu 0xfffe
	s_cmp_eq_u32 s14, 0
	s_add_nc_u64 s[14:15], s[4:5], 2
	s_cselect_b32 s17, s17, -1
	s_delay_alu instid0(SALU_CYCLE_1)
	s_cmp_lg_u32 s17, 0
	s_wait_alu 0xfffe
	s_cselect_b32 s12, s14, s12
	s_cselect_b32 s13, s15, s13
	s_cmp_gt_u32 s18, 5
	s_cselect_b32 s14, -1, 0
	s_cmp_eq_u32 s16, 0
	s_wait_alu 0xfffe
	s_cselect_b32 s14, s14, -1
	s_wait_alu 0xfffe
	s_cmp_lg_u32 s14, 0
	s_cselect_b32 s5, s13, s5
	s_cselect_b32 s4, s12, s4
	s_wait_alu 0xfffe
	s_add_nc_u64 s[34:35], s[4:5], 1
	s_delay_alu instid0(SALU_CYCLE_1) | instskip(NEXT) | instid1(VALU_DEP_1)
	v_cmp_lt_u64_e64 s4, s[2:3], s[34:35]
	s_and_b32 vcc_lo, exec_lo, s4
	s_cbranch_vccnz .LBB0_4
; %bb.3:
	v_cvt_f32_u32_e32 v1, s34
	s_sub_co_i32 s5, 0, s34
	s_mov_b32 s21, s3
	s_delay_alu instid0(VALU_DEP_1) | instskip(NEXT) | instid1(TRANS32_DEP_1)
	v_rcp_iflag_f32_e32 v1, v1
	v_mul_f32_e32 v1, 0x4f7ffffe, v1
	s_delay_alu instid0(VALU_DEP_1) | instskip(NEXT) | instid1(VALU_DEP_1)
	v_cvt_u32_f32_e32 v1, v1
	v_readfirstlane_b32 s4, v1
	s_wait_alu 0xfffe
	s_delay_alu instid0(VALU_DEP_1)
	s_mul_i32 s5, s5, s4
	s_wait_alu 0xfffe
	s_mul_hi_u32 s5, s4, s5
	s_wait_alu 0xfffe
	s_add_co_i32 s4, s4, s5
	s_wait_alu 0xfffe
	s_mul_hi_u32 s4, s2, s4
	s_wait_alu 0xfffe
	s_mul_i32 s5, s4, s34
	s_add_co_i32 s12, s4, 1
	s_wait_alu 0xfffe
	s_sub_co_i32 s5, s2, s5
	s_wait_alu 0xfffe
	s_sub_co_i32 s13, s5, s34
	s_cmp_ge_u32 s5, s34
	s_cselect_b32 s4, s12, s4
	s_wait_alu 0xfffe
	s_cselect_b32 s5, s13, s5
	s_add_co_i32 s12, s4, 1
	s_wait_alu 0xfffe
	s_cmp_ge_u32 s5, s34
	s_cselect_b32 s20, s12, s4
.LBB0_4:
	s_load_b128 s[16:19], s[10:11], 0x0
	s_load_b128 s[12:15], s[26:27], 0x0
	s_load_b64 s[22:23], s[0:1], 0x0
	v_cmp_lt_u64_e64 s30, s[6:7], 3
	s_mul_u64 s[4:5], s[20:21], s[34:35]
	s_wait_alu 0xfffe
	s_sub_nc_u64 s[4:5], s[2:3], s[4:5]
	s_wait_alu 0xfffe
	s_mul_u64 s[24:25], s[4:5], 6
	s_and_b32 vcc_lo, exec_lo, s30
	s_wait_kmcnt 0x0
	s_mul_u64 s[30:31], s[18:19], s[24:25]
	s_mul_u64 s[4:5], s[14:15], s[24:25]
	s_cbranch_vccnz .LBB0_14
; %bb.5:
	s_add_nc_u64 s[36:37], s[26:27], 16
	s_add_nc_u64 s[38:39], s[10:11], 16
	s_add_nc_u64 s[8:9], s[8:9], 16
	s_mov_b64 s[40:41], 2
	s_mov_b32 s42, 0
.LBB0_6:                                ; =>This Inner Loop Header: Depth=1
	s_load_b64 s[44:45], s[8:9], 0x0
                                        ; implicit-def: $sgpr48_sgpr49
	s_wait_kmcnt 0x0
	s_or_b64 s[46:47], s[20:21], s[44:45]
	s_delay_alu instid0(SALU_CYCLE_1)
	s_mov_b32 s43, s47
	s_mov_b32 s47, -1
	s_cmp_lg_u64 s[42:43], 0
	s_cbranch_scc0 .LBB0_8
; %bb.7:                                ;   in Loop: Header=BB0_6 Depth=1
	s_cvt_f32_u32 s33, s44
	s_cvt_f32_u32 s43, s45
	s_sub_nc_u64 s[50:51], 0, s[44:45]
	s_mov_b32 s47, 0
	s_mov_b32 s55, s42
	s_wait_alu 0xfffe
	s_fmamk_f32 s33, s43, 0x4f800000, s33
	s_wait_alu 0xfffe
	s_delay_alu instid0(SALU_CYCLE_2) | instskip(NEXT) | instid1(TRANS32_DEP_1)
	v_s_rcp_f32 s33, s33
	s_mul_f32 s33, s33, 0x5f7ffffc
	s_wait_alu 0xfffe
	s_delay_alu instid0(SALU_CYCLE_2) | instskip(NEXT) | instid1(SALU_CYCLE_3)
	s_mul_f32 s43, s33, 0x2f800000
	s_trunc_f32 s43, s43
	s_delay_alu instid0(SALU_CYCLE_3) | instskip(SKIP_2) | instid1(SALU_CYCLE_1)
	s_fmamk_f32 s33, s43, 0xcf800000, s33
	s_cvt_u32_f32 s49, s43
	s_wait_alu 0xfffe
	s_cvt_u32_f32 s48, s33
	s_wait_alu 0xfffe
	s_delay_alu instid0(SALU_CYCLE_2)
	s_mul_u64 s[52:53], s[50:51], s[48:49]
	s_wait_alu 0xfffe
	s_mul_hi_u32 s57, s48, s53
	s_mul_i32 s56, s48, s53
	s_mul_hi_u32 s46, s48, s52
	s_mul_i32 s43, s49, s52
	s_add_nc_u64 s[56:57], s[46:47], s[56:57]
	s_mul_hi_u32 s33, s49, s52
	s_mul_hi_u32 s58, s49, s53
	s_add_co_u32 s43, s56, s43
	s_wait_alu 0xfffe
	s_add_co_ci_u32 s54, s57, s33
	s_mul_i32 s52, s49, s53
	s_add_co_ci_u32 s53, s58, 0
	s_wait_alu 0xfffe
	s_add_nc_u64 s[52:53], s[54:55], s[52:53]
	s_wait_alu 0xfffe
	v_add_co_u32 v1, s33, s48, s52
	s_delay_alu instid0(VALU_DEP_1) | instskip(SKIP_1) | instid1(VALU_DEP_1)
	s_cmp_lg_u32 s33, 0
	s_add_co_ci_u32 s49, s49, s53
	v_readfirstlane_b32 s48, v1
	s_mov_b32 s53, s42
	s_wait_alu 0xfffe
	s_delay_alu instid0(VALU_DEP_1)
	s_mul_u64 s[50:51], s[50:51], s[48:49]
	s_wait_alu 0xfffe
	s_mul_hi_u32 s55, s48, s51
	s_mul_i32 s54, s48, s51
	s_mul_hi_u32 s46, s48, s50
	s_mul_i32 s43, s49, s50
	s_add_nc_u64 s[54:55], s[46:47], s[54:55]
	s_mul_hi_u32 s33, s49, s50
	s_mul_hi_u32 s48, s49, s51
	s_add_co_u32 s43, s54, s43
	s_wait_alu 0xfffe
	s_add_co_ci_u32 s52, s55, s33
	s_mul_i32 s50, s49, s51
	s_add_co_ci_u32 s51, s48, 0
	s_wait_alu 0xfffe
	s_add_nc_u64 s[50:51], s[52:53], s[50:51]
	s_wait_alu 0xfffe
	v_add_co_u32 v1, s33, v1, s50
	s_delay_alu instid0(VALU_DEP_1) | instskip(SKIP_1) | instid1(VALU_DEP_1)
	s_cmp_lg_u32 s33, 0
	s_add_co_ci_u32 s33, s49, s51
	v_readfirstlane_b32 s43, v1
	s_wait_alu 0xfffe
	s_mul_hi_u32 s49, s20, s33
	s_mul_i32 s48, s20, s33
	s_mul_hi_u32 s51, s21, s33
	s_mul_i32 s50, s21, s33
	;; [unrolled: 2-line block ×3, first 2 shown]
	s_wait_alu 0xfffe
	s_add_nc_u64 s[48:49], s[46:47], s[48:49]
	s_mul_hi_u32 s43, s21, s43
	s_wait_alu 0xfffe
	s_add_co_u32 s33, s48, s33
	s_add_co_ci_u32 s52, s49, s43
	s_add_co_ci_u32 s51, s51, 0
	s_wait_alu 0xfffe
	s_add_nc_u64 s[48:49], s[52:53], s[50:51]
	s_wait_alu 0xfffe
	s_mul_u64 s[50:51], s[44:45], s[48:49]
	s_add_nc_u64 s[52:53], s[48:49], 1
	s_wait_alu 0xfffe
	v_sub_co_u32 v1, s33, s20, s50
	s_sub_co_i32 s43, s21, s51
	s_cmp_lg_u32 s33, 0
	s_add_nc_u64 s[54:55], s[48:49], 2
	s_delay_alu instid0(VALU_DEP_1) | instskip(SKIP_2) | instid1(VALU_DEP_1)
	v_sub_co_u32 v2, s46, v1, s44
	s_sub_co_ci_u32 s43, s43, s45
	s_cmp_lg_u32 s46, 0
	v_readfirstlane_b32 s46, v2
	s_sub_co_ci_u32 s43, s43, 0
	s_delay_alu instid0(SALU_CYCLE_1) | instskip(SKIP_1) | instid1(VALU_DEP_1)
	s_cmp_ge_u32 s43, s45
	s_cselect_b32 s50, -1, 0
	s_cmp_ge_u32 s46, s44
	s_cselect_b32 s46, -1, 0
	s_cmp_eq_u32 s43, s45
	s_wait_alu 0xfffe
	s_cselect_b32 s43, s46, s50
	s_delay_alu instid0(SALU_CYCLE_1)
	s_cmp_lg_u32 s43, 0
	s_cselect_b32 s43, s54, s52
	s_cselect_b32 s46, s55, s53
	s_cmp_lg_u32 s33, 0
	v_readfirstlane_b32 s33, v1
	s_sub_co_ci_u32 s50, s21, s51
	s_wait_alu 0xfffe
	s_cmp_ge_u32 s50, s45
	s_cselect_b32 s51, -1, 0
	s_cmp_ge_u32 s33, s44
	s_cselect_b32 s33, -1, 0
	s_cmp_eq_u32 s50, s45
	s_wait_alu 0xfffe
	s_cselect_b32 s33, s33, s51
	s_wait_alu 0xfffe
	s_cmp_lg_u32 s33, 0
	s_cselect_b32 s49, s46, s49
	s_cselect_b32 s48, s43, s48
.LBB0_8:                                ;   in Loop: Header=BB0_6 Depth=1
	s_and_not1_b32 vcc_lo, exec_lo, s47
	s_cbranch_vccnz .LBB0_10
; %bb.9:                                ;   in Loop: Header=BB0_6 Depth=1
	v_cvt_f32_u32_e32 v1, s44
	s_sub_co_i32 s43, 0, s44
	s_mov_b32 s49, s42
	s_delay_alu instid0(VALU_DEP_1) | instskip(NEXT) | instid1(TRANS32_DEP_1)
	v_rcp_iflag_f32_e32 v1, v1
	v_mul_f32_e32 v1, 0x4f7ffffe, v1
	s_delay_alu instid0(VALU_DEP_1) | instskip(NEXT) | instid1(VALU_DEP_1)
	v_cvt_u32_f32_e32 v1, v1
	v_readfirstlane_b32 s33, v1
	s_delay_alu instid0(VALU_DEP_1) | instskip(NEXT) | instid1(SALU_CYCLE_1)
	s_mul_i32 s43, s43, s33
	s_mul_hi_u32 s43, s33, s43
	s_delay_alu instid0(SALU_CYCLE_1)
	s_add_co_i32 s33, s33, s43
	s_wait_alu 0xfffe
	s_mul_hi_u32 s33, s20, s33
	s_wait_alu 0xfffe
	s_mul_i32 s43, s33, s44
	s_add_co_i32 s46, s33, 1
	s_sub_co_i32 s43, s20, s43
	s_delay_alu instid0(SALU_CYCLE_1)
	s_sub_co_i32 s47, s43, s44
	s_cmp_ge_u32 s43, s44
	s_cselect_b32 s33, s46, s33
	s_cselect_b32 s43, s47, s43
	s_wait_alu 0xfffe
	s_add_co_i32 s46, s33, 1
	s_cmp_ge_u32 s43, s44
	s_cselect_b32 s48, s46, s33
.LBB0_10:                               ;   in Loop: Header=BB0_6 Depth=1
	s_load_b64 s[46:47], s[38:39], 0x0
	s_load_b64 s[50:51], s[36:37], 0x0
	s_add_nc_u64 s[40:41], s[40:41], 1
	s_mul_u64 s[34:35], s[44:45], s[34:35]
	s_wait_alu 0xfffe
	v_cmp_ge_u64_e64 s33, s[40:41], s[6:7]
	s_mul_u64 s[44:45], s[48:49], s[44:45]
	s_add_nc_u64 s[36:37], s[36:37], 8
	s_wait_alu 0xfffe
	s_sub_nc_u64 s[20:21], s[20:21], s[44:45]
	s_add_nc_u64 s[38:39], s[38:39], 8
	s_add_nc_u64 s[8:9], s[8:9], 8
	s_and_b32 vcc_lo, exec_lo, s33
	s_wait_kmcnt 0x0
	s_wait_alu 0xfffe
	s_mul_u64 s[44:45], s[46:47], s[20:21]
	s_mul_u64 s[20:21], s[50:51], s[20:21]
	s_wait_alu 0xfffe
	s_add_nc_u64 s[30:31], s[44:45], s[30:31]
	s_add_nc_u64 s[4:5], s[20:21], s[4:5]
	s_cbranch_vccnz .LBB0_12
; %bb.11:                               ;   in Loop: Header=BB0_6 Depth=1
	s_mov_b64 s[20:21], s[48:49]
	s_branch .LBB0_6
.LBB0_12:
	v_cmp_lt_u64_e64 s3, s[2:3], s[34:35]
	s_mov_b64 s[20:21], 0
	s_delay_alu instid0(VALU_DEP_1)
	s_and_b32 vcc_lo, exec_lo, s3
	s_cbranch_vccnz .LBB0_14
; %bb.13:
	v_cvt_f32_u32_e32 v1, s34
	s_sub_co_i32 s8, 0, s34
	s_mov_b32 s21, 0
	s_delay_alu instid0(VALU_DEP_1) | instskip(NEXT) | instid1(TRANS32_DEP_1)
	v_rcp_iflag_f32_e32 v1, v1
	v_mul_f32_e32 v1, 0x4f7ffffe, v1
	s_delay_alu instid0(VALU_DEP_1) | instskip(NEXT) | instid1(VALU_DEP_1)
	v_cvt_u32_f32_e32 v1, v1
	v_readfirstlane_b32 s3, v1
	s_delay_alu instid0(VALU_DEP_1) | instskip(NEXT) | instid1(SALU_CYCLE_1)
	s_mul_i32 s8, s8, s3
	s_mul_hi_u32 s8, s3, s8
	s_delay_alu instid0(SALU_CYCLE_1) | instskip(SKIP_4) | instid1(SALU_CYCLE_1)
	s_add_co_i32 s3, s3, s8
	s_wait_alu 0xfffe
	s_mul_hi_u32 s3, s2, s3
	s_wait_alu 0xfffe
	s_mul_i32 s8, s3, s34
	s_sub_co_i32 s2, s2, s8
	s_add_co_i32 s8, s3, 1
	s_wait_alu 0xfffe
	s_sub_co_i32 s9, s2, s34
	s_cmp_ge_u32 s2, s34
	s_cselect_b32 s3, s8, s3
	s_cselect_b32 s2, s9, s2
	s_wait_alu 0xfffe
	s_add_co_i32 s8, s3, 1
	s_cmp_ge_u32 s2, s34
	s_cselect_b32 s20, s8, s3
.LBB0_14:
	v_mul_hi_u32 v11, 0x2aaaaaab, v0
	s_load_b128 s[0:3], s[0:1], 0x60
	s_lshl_b64 s[8:9], s[6:7], 3
	s_add_nc_u64 s[6:7], s[24:25], 6
	s_delay_alu instid0(VALU_DEP_1)
	v_mul_u32_u24_e32 v1, 6, v11
	v_lshlrev_b32_e32 v13, 2, v11
	v_add_nc_u32_e32 v10, 56, v11
	v_add_nc_u32_e32 v8, 0x70, v11
	;; [unrolled: 1-line block ×3, first 2 shown]
	v_sub_nc_u32_e32 v12, v0, v1
	v_add_nc_u32_e32 v7, 0xe0, v11
	v_add_nc_u32_e32 v6, 0x118, v11
	s_delay_alu instid0(VALU_DEP_3)
	v_add_co_u32 v1, s33, s24, v12
	s_wait_alu 0xf1ff
	v_add_co_ci_u32_e64 v2, null, s25, 0, s33
	s_wait_alu 0xfffe
	v_cmp_le_u64_e64 s33, s[6:7], s[28:29]
	v_mul_lo_u32 v14, 0x540, v12
	s_add_nc_u64 s[6:7], s[26:27], s[8:9]
	v_cmp_gt_u64_e32 vcc_lo, s[28:29], v[1:2]
	s_delay_alu instid0(VALU_DEP_3) | instskip(NEXT) | instid1(SALU_CYCLE_1)
	s_or_b32 s26, s33, vcc_lo
	s_and_saveexec_b32 s27, s26
	s_cbranch_execz .LBB0_16
; %bb.15:
	s_add_nc_u64 s[8:9], s[10:11], s[8:9]
	v_mad_co_u64_u32 v[1:2], null, s18, v12, 0
	s_load_b64 s[8:9], s[8:9], 0x0
	v_mad_co_u64_u32 v[3:4], null, s16, v11, 0
	v_mad_co_u64_u32 v[15:16], null, s16, v10, 0
	;; [unrolled: 1-line block ×3, first 2 shown]
	s_lshl_b64 s[10:11], s[30:31], 2
	v_mad_co_u64_u32 v[25:26], null, s16, v6, 0
	s_delay_alu instid0(VALU_DEP_4) | instskip(SKIP_3) | instid1(VALU_DEP_2)
	v_mad_co_u64_u32 v[17:18], null, s19, v12, v[2:3]
	v_mad_co_u64_u32 v[18:19], null, s16, v8, 0
	v_mov_b32_e32 v2, v4
	v_mov_b32_e32 v4, v16
	v_mad_co_u64_u32 v[20:21], null, s17, v11, v[2:3]
	v_mov_b32_e32 v2, v17
	s_wait_kmcnt 0x0
	s_mul_u64 s[8:9], s[8:9], s[20:21]
	v_mad_co_u64_u32 v[21:22], null, s16, v9, 0
	s_lshl_b64 s[8:9], s[8:9], 2
	v_lshlrev_b64_e32 v[1:2], 2, v[1:2]
	s_add_nc_u64 s[0:1], s[0:1], s[8:9]
	v_mad_co_u64_u32 v[16:17], null, s17, v10, v[4:5]
	v_mov_b32_e32 v4, v20
	s_add_nc_u64 s[0:1], s[0:1], s[10:11]
	s_delay_alu instid0(VALU_DEP_3) | instid1(SALU_CYCLE_1)
	v_add_co_u32 v27, vcc_lo, s0, v1
	v_add_co_ci_u32_e32 v28, vcc_lo, s1, v2, vcc_lo
	s_delay_alu instid0(VALU_DEP_3) | instskip(SKIP_2) | instid1(VALU_DEP_2)
	v_lshlrev_b64_e32 v[2:3], 2, v[3:4]
	v_dual_mov_b32 v4, v22 :: v_dual_mov_b32 v1, v19
	v_lshlrev_b64_e32 v[15:16], 2, v[15:16]
	v_mad_co_u64_u32 v[4:5], null, s17, v9, v[4:5]
	s_delay_alu instid0(VALU_DEP_3) | instskip(SKIP_3) | instid1(VALU_DEP_4)
	v_mad_co_u64_u32 v[19:20], null, s17, v8, v[1:2]
	v_add_co_u32 v1, vcc_lo, v27, v2
	s_wait_alu 0xfffd
	v_add_co_ci_u32_e32 v2, vcc_lo, v28, v3, vcc_lo
	v_dual_mov_b32 v3, v24 :: v_dual_mov_b32 v22, v4
	s_delay_alu instid0(VALU_DEP_4) | instskip(SKIP_1) | instid1(VALU_DEP_3)
	v_lshlrev_b64_e32 v[17:18], 2, v[18:19]
	v_add_co_u32 v15, vcc_lo, v27, v15
	v_mad_co_u64_u32 v[3:4], null, s17, v7, v[3:4]
	v_mov_b32_e32 v4, v26
	v_lshlrev_b64_e32 v[19:20], 2, v[21:22]
	s_wait_alu 0xfffd
	v_add_co_ci_u32_e32 v16, vcc_lo, v28, v16, vcc_lo
	v_add_co_u32 v17, vcc_lo, v27, v17
	v_mad_co_u64_u32 v[4:5], null, s17, v6, v[4:5]
	v_mov_b32_e32 v24, v3
	s_wait_alu 0xfffd
	v_add_co_ci_u32_e32 v18, vcc_lo, v28, v18, vcc_lo
	v_add_co_u32 v3, vcc_lo, v27, v19
	s_delay_alu instid0(VALU_DEP_3) | instskip(SKIP_3) | instid1(VALU_DEP_2)
	v_lshlrev_b64_e32 v[21:22], 2, v[23:24]
	v_mov_b32_e32 v26, v4
	s_wait_alu 0xfffd
	v_add_co_ci_u32_e32 v4, vcc_lo, v28, v20, vcc_lo
	v_lshlrev_b64_e32 v[19:20], 2, v[25:26]
	s_delay_alu instid0(VALU_DEP_4) | instskip(SKIP_2) | instid1(VALU_DEP_3)
	v_add_co_u32 v21, vcc_lo, v27, v21
	s_wait_alu 0xfffd
	v_add_co_ci_u32_e32 v22, vcc_lo, v28, v22, vcc_lo
	v_add_co_u32 v19, vcc_lo, v27, v19
	s_wait_alu 0xfffd
	v_add_co_ci_u32_e32 v20, vcc_lo, v28, v20, vcc_lo
	s_clause 0x5
	global_load_b32 v1, v[1:2], off
	global_load_b32 v2, v[15:16], off
	global_load_b32 v5, v[17:18], off
	global_load_b32 v3, v[3:4], off
	global_load_b32 v4, v[21:22], off
	global_load_b32 v15, v[19:20], off
	v_add3_u32 v16, 0, v14, v13
	s_delay_alu instid0(VALU_DEP_1)
	v_add_nc_u32_e32 v17, 0x200, v16
	s_wait_loadcnt 0x4
	ds_store_2addr_b32 v16, v1, v2 offset1:56
	s_wait_loadcnt 0x2
	ds_store_2addr_b32 v16, v5, v3 offset0:112 offset1:168
	s_wait_loadcnt 0x0
	ds_store_2addr_b32 v17, v4, v15 offset0:96 offset1:152
.LBB0_16:
	s_or_b32 exec_lo, exec_lo, s27
	s_wait_kmcnt 0x0
	s_mov_b32 s0, 0
	s_mov_b32 s8, 0xaaa80000
	s_movk_i32 s9, 0xaa
	s_wait_alu 0xfffe
	s_mov_b32 s1, s0
	s_mov_b32 s19, s0
	s_wait_alu 0xfffe
	s_add_nc_u64 s[8:9], s[0:1], s[8:9]
	v_mul_hi_u32 v5, 0x4924925, v0
	s_add_co_i32 s9, s9, 0x2aaaaa00
	s_delay_alu instid0(SALU_CYCLE_1) | instskip(NEXT) | instid1(SALU_CYCLE_1)
	s_mul_u64 s[10:11], s[8:9], -6
	s_mul_hi_u32 s17, s8, s11
	s_mul_i32 s16, s8, s11
	s_mul_hi_u32 s18, s8, s10
	s_mul_hi_u32 s1, s9, s10
	s_mul_i32 s10, s9, s10
	s_wait_alu 0xfffe
	s_add_nc_u64 s[16:17], s[18:19], s[16:17]
	s_mul_hi_u32 s18, s9, s11
	s_wait_alu 0xfffe
	s_add_co_u32 s10, s16, s10
	s_add_co_ci_u32 s10, s17, s1
	s_add_co_ci_u32 s17, s18, 0
	s_mul_i32 s16, s9, s11
	s_mov_b32 s11, s0
	s_wait_alu 0xfffe
	s_add_nc_u64 s[0:1], s[10:11], s[16:17]
	s_wait_alu 0xfffe
	v_add_co_u32 v3, s0, s8, s0
	s_delay_alu instid0(VALU_DEP_1) | instskip(SKIP_4) | instid1(VALU_DEP_2)
	s_cmp_lg_u32 s0, 0
	v_add_co_u32 v22, s0, s24, v5
	s_wait_alu 0xf1ff
	v_add_co_ci_u32_e64 v15, null, s25, 0, s0
	s_add_co_ci_u32 s0, s9, s1
	v_mul_hi_u32 v16, v22, v3
	s_wait_alu 0xfffe
	v_mad_co_u64_u32 v[1:2], null, v22, s0, 0
	v_mad_co_u64_u32 v[3:4], null, v15, v3, 0
	s_delay_alu instid0(VALU_DEP_2) | instskip(SKIP_1) | instid1(VALU_DEP_3)
	v_add_co_u32 v16, vcc_lo, v16, v1
	s_wait_alu 0xfffd
	v_add_co_ci_u32_e32 v17, vcc_lo, 0, v2, vcc_lo
	v_mad_co_u64_u32 v[1:2], null, v15, s0, 0
	s_delay_alu instid0(VALU_DEP_3) | instskip(SKIP_1) | instid1(VALU_DEP_3)
	v_add_co_u32 v3, vcc_lo, v16, v3
	s_wait_alu 0xfffd
	v_add_co_ci_u32_e32 v3, vcc_lo, v17, v4, vcc_lo
	s_load_b64 s[0:1], s[6:7], 0x0
	global_wb scope:SCOPE_SE
	s_wait_dscnt 0x0
	v_add_co_ci_u32_e32 v2, vcc_lo, 0, v2, vcc_lo
	v_add_co_u32 v1, vcc_lo, v3, v1
	s_wait_kmcnt 0x0
	s_barrier_signal -1
	s_wait_alu 0xfffd
	v_add_co_ci_u32_e32 v3, vcc_lo, 0, v2, vcc_lo
	v_mad_co_u64_u32 v[1:2], null, v1, 6, 0
	s_barrier_wait -1
	global_inv scope:SCOPE_SE
	v_mad_co_u64_u32 v[2:3], null, v3, 6, v[2:3]
	v_sub_co_u32 v1, vcc_lo, v22, v1
	s_wait_alu 0xfffd
	s_delay_alu instid0(VALU_DEP_2) | instskip(NEXT) | instid1(VALU_DEP_2)
	v_sub_co_ci_u32_e32 v2, vcc_lo, v15, v2, vcc_lo
	v_sub_co_u32 v3, vcc_lo, v1, 6
	s_wait_alu 0xfffd
	s_delay_alu instid0(VALU_DEP_2) | instskip(NEXT) | instid1(VALU_DEP_2)
	v_subrev_co_ci_u32_e32 v4, vcc_lo, 0, v2, vcc_lo
	v_cmp_lt_u32_e32 vcc_lo, 5, v3
	s_wait_alu 0xfffd
	v_cndmask_b32_e64 v15, 0, -1, vcc_lo
	v_cmp_lt_u32_e32 vcc_lo, 5, v1
	s_wait_alu 0xfffd
	v_cndmask_b32_e64 v16, 0, -1, vcc_lo
	v_cmp_eq_u32_e32 vcc_lo, 0, v4
	s_wait_alu 0xfffd
	v_cndmask_b32_e32 v4, -1, v15, vcc_lo
	v_cmp_eq_u32_e32 vcc_lo, 0, v2
	s_wait_alu 0xfffd
	v_dual_cndmask_b32 v2, -1, v16 :: v_dual_add_nc_u32 v15, -6, v3
	s_delay_alu instid0(VALU_DEP_3) | instskip(SKIP_1) | instid1(VALU_DEP_1)
	v_cmp_ne_u32_e32 vcc_lo, 0, v4
	v_mul_u32_u24_e32 v4, 56, v5
	v_sub_nc_u32_e32 v28, v0, v4
	s_wait_alu 0xfffd
	v_cndmask_b32_e32 v3, v3, v15, vcc_lo
	v_cmp_ne_u32_e32 vcc_lo, 0, v2
	s_wait_alu 0xfffd
	s_delay_alu instid0(VALU_DEP_2) | instskip(SKIP_1) | instid1(VALU_DEP_2)
	v_dual_cndmask_b32 v1, v1, v3 :: v_dual_lshlrev_b32 v2, 2, v28
	v_cmp_gt_u32_e32 vcc_lo, 48, v28
	v_mul_u32_u24_e32 v0, 0x150, v1
	s_delay_alu instid0(VALU_DEP_1) | instskip(NEXT) | instid1(VALU_DEP_1)
	v_lshlrev_b32_e32 v26, 2, v0
	v_add3_u32 v15, 0, v2, v26
	ds_load_2addr_b32 v[0:1], v15 offset0:168 offset1:224
	ds_load_b32 v4, v15 offset:1120
	v_add3_u32 v16, 0, v26, v2
	ds_load_2addr_b32 v[2:3], v15 offset0:56 offset1:112
	ds_load_b32 v5, v16
	v_mad_i32_i24 v24, v28, 20, v15
	global_wb scope:SCOPE_SE
	s_wait_dscnt 0x0
	s_barrier_signal -1
	s_barrier_wait -1
	global_inv scope:SCOPE_SE
	v_pk_add_f16 v17, v0, v4
	v_pk_add_f16 v18, v0, v4 neg_lo:[0,1] neg_hi:[0,1]
	v_pk_add_f16 v0, v2, v0
	s_delay_alu instid0(VALU_DEP_3)
	v_pk_fma_f16 v17, v17, 0.5, v2 op_sel_hi:[1,0,1] neg_lo:[1,0,0] neg_hi:[1,0,0]
	v_pk_add_f16 v2, v3, v1
	v_pk_add_f16 v19, v5, v3
	v_pk_add_f16 v3, v3, v1 neg_lo:[0,1] neg_hi:[0,1]
	v_pk_add_f16 v0, v0, v4
	v_pk_fma_f16 v20, 0x3aee, v18, v17 op_sel:[0,0,1] op_sel_hi:[0,1,0]
	v_pk_fma_f16 v18, 0x3aee, v18, v17 op_sel:[0,0,1] op_sel_hi:[0,1,0] neg_lo:[0,1,0] neg_hi:[0,1,0]
	v_pk_fma_f16 v2, v2, 0.5, v5 op_sel_hi:[1,0,1] neg_lo:[1,0,0] neg_hi:[1,0,0]
	v_pk_add_f16 v1, v19, v1
	v_pk_mul_f16 v3, 0x3aee, v3 op_sel_hi:[0,1]
	v_lshrrev_b32_e32 v5, 16, v20
	v_bfi_b32 v4, 0xffff, v20, v18
	v_mul_f16_e32 v23, 0x3aee, v18
	v_pk_add_f16 v17, v1, v0
	v_pk_add_f16 v21, v2, v3 op_sel:[0,1] op_sel_hi:[1,0]
	v_mul_f16_e32 v20, 0xbaee, v5
	v_pk_mul_f16 v19, v4, 0.5 op_sel_hi:[1,0]
	v_pk_add_f16 v3, v2, v3 op_sel:[0,1] op_sel_hi:[1,0] neg_lo:[0,1] neg_hi:[0,1]
	v_pk_add_f16 v0, v1, v0 neg_lo:[0,1] neg_hi:[0,1]
	v_fmac_f16_e32 v23, 0.5, v5
	v_fmac_f16_e32 v20, 0.5, v18
	v_pk_fma_f16 v4, 0xbaee3aee, v4, v19 op_sel:[0,0,1] op_sel_hi:[1,1,0] neg_lo:[0,0,1] neg_hi:[0,0,1]
	v_lshrrev_b32_e32 v1, 16, v3
	v_bfi_b32 v27, 0xffff, v3, v21
	v_lshrrev_b32_e32 v5, 16, v21
	v_add_f16_e32 v2, v21, v23
	v_pack_b32_f16 v25, v20, v4
	v_lshrrev_b32_e32 v19, 16, v4
	v_add_f16_e32 v18, v1, v20
	v_sub_f16_e32 v1, v21, v23
	v_lshrrev_b32_e32 v21, 16, v0
	v_pk_add_f16 v20, v3, v25 op_sel:[1,0] op_sel_hi:[0,1] neg_lo:[0,1] neg_hi:[0,1]
	v_pk_add_f16 v3, v27, v4
	v_sub_f16_e32 v19, v5, v19
	v_pack_b32_f16 v5, v2, v18
	s_delay_alu instid0(VALU_DEP_4) | instskip(NEXT) | instid1(VALU_DEP_4)
	v_lshrrev_b32_e32 v4, 16, v20
	v_lshrrev_b32_e32 v23, 16, v3
	s_delay_alu instid0(VALU_DEP_4)
	v_alignbit_b32 v25, v19, v20, 16
	v_pack_b32_f16 v27, v1, v20
	ds_store_2addr_b32 v24, v17, v5 offset1:1
	ds_store_2addr_b32 v24, v3, v0 offset0:2 offset1:3
	ds_store_2addr_b32 v24, v27, v25 offset0:4 offset1:5
	global_wb scope:SCOPE_SE
	s_wait_dscnt 0x0
	s_barrier_signal -1
	s_barrier_wait -1
	global_inv scope:SCOPE_SE
                                        ; implicit-def: $vgpr24
	s_and_saveexec_b32 s6, vcc_lo
	s_cbranch_execz .LBB0_18
; %bb.17:
	v_add_nc_u32_e32 v4, 0x200, v15
	ds_load_2addr_b32 v[2:3], v15 offset0:48 offset1:96
	ds_load_2addr_b32 v[0:1], v15 offset0:144 offset1:192
	;; [unrolled: 1-line block ×3, first 2 shown]
	ds_load_b32 v17, v16
	s_wait_dscnt 0x3
	v_lshrrev_b32_e32 v18, 16, v2
	v_lshrrev_b32_e32 v23, 16, v3
	s_wait_dscnt 0x2
	v_lshrrev_b32_e32 v21, 16, v0
	v_lshrrev_b32_e32 v20, 16, v1
	;; [unrolled: 3-line block ×3, first 2 shown]
.LBB0_18:
	s_wait_alu 0xfffe
	s_or_b32 exec_lo, exec_lo, s6
	v_and_b32_e32 v25, 0xff, v28
	s_delay_alu instid0(VALU_DEP_1) | instskip(NEXT) | instid1(VALU_DEP_1)
	v_mul_lo_u16 v25, 0xab, v25
	v_lshrrev_b16 v27, 10, v25
	s_delay_alu instid0(VALU_DEP_1) | instskip(NEXT) | instid1(VALU_DEP_1)
	v_mul_lo_u16 v25, v27, 6
	v_sub_nc_u16 v25, v28, v25
	s_delay_alu instid0(VALU_DEP_1) | instskip(NEXT) | instid1(VALU_DEP_1)
	v_and_b32_e32 v29, 0xff, v25
	v_mul_u32_u24_e32 v25, 6, v29
	s_delay_alu instid0(VALU_DEP_1)
	v_lshlrev_b32_e32 v25, 2, v25
	s_clause 0x1
	global_load_b128 v[30:33], v25, s[22:23]
	global_load_b64 v[34:35], v25, s[22:23] offset:16
	s_wait_dscnt 0x0
	v_lshrrev_b32_e32 v25, 16, v17
	global_wb scope:SCOPE_SE
	s_wait_loadcnt 0x0
	s_barrier_signal -1
	s_barrier_wait -1
	global_inv scope:SCOPE_SE
	v_lshrrev_b32_e32 v36, 16, v30
	v_lshrrev_b32_e32 v37, 16, v31
	;; [unrolled: 1-line block ×6, first 2 shown]
	v_mul_f16_e32 v42, v18, v36
	v_mul_f16_e32 v36, v2, v36
	;; [unrolled: 1-line block ×12, first 2 shown]
	v_fma_f16 v2, v2, v30, -v42
	v_fmac_f16_e32 v36, v18, v30
	v_fma_f16 v3, v3, v31, -v43
	v_fmac_f16_e32 v37, v23, v31
	;; [unrolled: 2-line block ×6, first 2 shown]
	v_add_f16_e32 v18, v2, v5
	v_add_f16_e32 v19, v36, v41
	;; [unrolled: 1-line block ×4, first 2 shown]
	v_sub_f16_e32 v2, v2, v5
	v_sub_f16_e32 v5, v36, v41
	;; [unrolled: 1-line block ×4, first 2 shown]
	v_add_f16_e32 v23, v0, v1
	v_add_f16_e32 v24, v38, v39
	v_sub_f16_e32 v0, v1, v0
	v_sub_f16_e32 v1, v39, v38
	v_add_f16_e32 v30, v20, v18
	v_add_f16_e32 v31, v21, v19
	v_sub_f16_e32 v32, v20, v18
	v_sub_f16_e32 v33, v21, v19
	;; [unrolled: 1-line block ×6, first 2 shown]
	v_add_f16_e32 v34, v0, v3
	v_add_f16_e32 v35, v1, v4
	v_sub_f16_e32 v36, v0, v3
	v_sub_f16_e32 v37, v1, v4
	v_sub_f16_e32 v3, v3, v2
	v_sub_f16_e32 v4, v4, v5
	v_add_f16_e32 v23, v23, v30
	v_add_f16_e32 v24, v24, v31
	v_sub_f16_e32 v0, v2, v0
	v_sub_f16_e32 v1, v5, v1
	v_add_f16_e32 v2, v34, v2
	v_add_f16_e32 v5, v35, v5
	v_mul_f16_e32 v30, 0x3a52, v18
	v_mul_f16_e32 v19, 0x3a52, v19
	;; [unrolled: 1-line block ×8, first 2 shown]
	v_add_f16_e32 v17, v17, v23
	v_add_f16_e32 v18, v25, v24
	v_fmamk_f16 v20, v20, 0x2b26, v30
	v_fmamk_f16 v21, v21, 0x2b26, v19
	v_fma_f16 v25, v32, 0x39e0, -v31
	v_fma_f16 v31, v33, 0x39e0, -v34
	;; [unrolled: 1-line block ×4, first 2 shown]
	v_fmamk_f16 v32, v0, 0x3574, v35
	v_fmamk_f16 v33, v1, 0x3574, v36
	v_fma_f16 v34, v3, 0x3b00, -v35
	v_fma_f16 v4, v4, 0x3b00, -v36
	;; [unrolled: 1-line block ×4, first 2 shown]
	v_fmamk_f16 v0, v23, 0xbcab, v17
	v_fmamk_f16 v1, v24, 0xbcab, v18
	v_fmac_f16_e32 v32, 0x370e, v2
	v_fmac_f16_e32 v33, 0x370e, v5
	;; [unrolled: 1-line block ×6, first 2 shown]
	v_add_f16_e32 v5, v20, v0
	v_add_f16_e32 v24, v21, v1
	;; [unrolled: 1-line block ×7, first 2 shown]
	v_sub_f16_e32 v20, v24, v32
	v_add_f16_e32 v3, v36, v25
	v_sub_f16_e32 v19, v30, v35
	v_sub_f16_e32 v0, v23, v4
	v_add_f16_e32 v21, v34, v31
	v_add_f16_e32 v1, v4, v23
	v_sub_f16_e32 v23, v31, v34
	v_sub_f16_e32 v4, v25, v36
	v_add_f16_e32 v25, v35, v30
	v_sub_f16_e32 v5, v5, v33
	v_add_f16_e32 v24, v32, v24
	s_and_saveexec_b32 s6, vcc_lo
	s_cbranch_execz .LBB0_20
; %bb.19:
	v_and_b32_e32 v27, 0xffff, v27
	v_lshlrev_b32_e32 v29, 2, v29
	v_perm_b32 v30, v18, v17, 0x5040100
	v_perm_b32 v31, v20, v2, 0x5040100
	v_perm_b32 v32, v19, v3, 0x5040100
	v_mad_u32_u24 v27, 0xa8, v27, 0
	v_perm_b32 v33, v21, v0, 0x5040100
	v_perm_b32 v34, v24, v5, 0x5040100
	s_delay_alu instid0(VALU_DEP_3)
	v_add3_u32 v26, v27, v29, v26
	v_perm_b32 v27, v23, v1, 0x5040100
	v_perm_b32 v29, v25, v4, 0x5040100
	ds_store_2addr_b32 v26, v30, v31 offset1:6
	ds_store_2addr_b32 v26, v32, v33 offset0:12 offset1:18
	ds_store_2addr_b32 v26, v27, v29 offset0:24 offset1:30
	ds_store_b32 v26, v34 offset:144
.LBB0_20:
	s_wait_alu 0xfffe
	s_or_b32 exec_lo, exec_lo, s6
	v_cmp_gt_u32_e32 vcc_lo, 42, v28
	global_wb scope:SCOPE_SE
	s_wait_dscnt 0x0
	s_barrier_signal -1
	s_barrier_wait -1
	global_inv scope:SCOPE_SE
                                        ; implicit-def: $vgpr27
                                        ; implicit-def: $vgpr26
	s_and_saveexec_b32 s6, vcc_lo
	s_cbranch_execz .LBB0_22
; %bb.21:
	ds_load_b32 v17, v16
	ds_load_2addr_b32 v[2:3], v15 offset0:42 offset1:84
	ds_load_2addr_b32 v[0:1], v15 offset0:126 offset1:168
	;; [unrolled: 1-line block ×3, first 2 shown]
	ds_load_b32 v26, v15 offset:1176
	s_wait_dscnt 0x4
	v_lshrrev_b32_e32 v18, 16, v17
	s_wait_dscnt 0x3
	v_lshrrev_b32_e32 v20, 16, v2
	v_lshrrev_b32_e32 v19, 16, v3
	s_wait_dscnt 0x2
	v_lshrrev_b32_e32 v21, 16, v0
	;; [unrolled: 3-line block ×4, first 2 shown]
.LBB0_22:
	s_wait_alu 0xfffe
	s_or_b32 exec_lo, exec_lo, s6
	v_subrev_nc_u32_e32 v29, 42, v28
	v_mul_lo_u32 v43, v22, 42
	s_add_co_i32 s6, 0, 0x1f80
	s_delay_alu instid0(VALU_DEP_2) | instskip(NEXT) | instid1(VALU_DEP_1)
	v_cndmask_b32_e32 v51, v29, v28, vcc_lo
	v_mul_lo_u32 v28, v51, v22
	s_delay_alu instid0(VALU_DEP_1) | instskip(SKIP_3) | instid1(VALU_DEP_4)
	v_and_b32_e32 v22, 31, v28
	v_lshrrev_b32_e32 v29, 3, v28
	v_lshrrev_b32_e32 v30, 8, v28
	v_add_nc_u32_e32 v28, v28, v43
	v_lshl_add_u32 v22, v22, 2, 0
	s_delay_alu instid0(VALU_DEP_4) | instskip(NEXT) | instid1(VALU_DEP_4)
	v_and_b32_e32 v29, 0x7c, v29
	v_and_b32_e32 v30, 0x7c, v30
	s_delay_alu instid0(VALU_DEP_4)
	v_and_b32_e32 v31, 31, v28
	v_lshrrev_b32_e32 v32, 3, v28
	v_lshrrev_b32_e32 v33, 8, v28
	v_add_nc_u32_e32 v28, v28, v43
	s_wait_alu 0xfffe
	v_add_nc_u32_e32 v34, s6, v30
	v_add_nc_u32_e32 v29, s6, v29
	v_and_b32_e32 v30, 0x7c, v32
	v_and_b32_e32 v32, 0x7c, v33
	;; [unrolled: 1-line block ×3, first 2 shown]
	v_lshrrev_b32_e32 v35, 3, v28
	v_lshrrev_b32_e32 v36, 8, v28
	v_add_nc_u32_e32 v28, v28, v43
	v_add_nc_u32_e32 v38, s6, v32
	;; [unrolled: 1-line block ×3, first 2 shown]
	v_and_b32_e32 v30, 0x7c, v35
	v_lshl_add_u32 v31, v31, 2, 0
	v_lshrrev_b32_e32 v32, 3, v28
	v_lshrrev_b32_e32 v39, 8, v28
	v_add_nc_u32_e32 v40, v28, v43
	v_lshl_add_u32 v33, v33, 2, 0
	v_add_nc_u32_e32 v41, s6, v30
	v_and_b32_e32 v42, 0x7c, v32
	v_and_b32_e32 v35, 0x7c, v36
	;; [unrolled: 1-line block ×3, first 2 shown]
	ds_load_b32 v30, v22 offset:8064
	ds_load_b32 v29, v29 offset:128
	;; [unrolled: 1-line block ×8, first 2 shown]
	v_and_b32_e32 v38, 0x7c, v39
	v_add_nc_u32_e32 v37, s6, v42
	v_and_b32_e32 v39, 31, v40
	v_lshrrev_b32_e32 v41, 3, v40
	v_lshrrev_b32_e32 v42, 8, v40
	v_add_nc_u32_e32 v40, v40, v43
	v_add_nc_u32_e32 v44, s6, v38
	v_lshl_add_u32 v45, v39, 2, 0
	v_and_b32_e32 v38, 0x7c, v41
	v_and_b32_e32 v39, 0x7c, v42
	v_lshrrev_b32_e32 v46, 8, v40
	v_lshrrev_b32_e32 v42, 3, v40
	v_add_nc_u32_e32 v52, v40, v43
	v_add_nc_u32_e32 v35, s6, v35
	v_and_b32_e32 v41, 31, v40
	v_and_b32_e32 v46, 0x7c, v46
	v_lshl_add_u32 v36, v36, 2, 0
	v_and_b32_e32 v50, 0x7c, v42
	v_add_nc_u32_e32 v43, v52, v43
	v_add_nc_u32_e32 v47, s6, v38
	;; [unrolled: 1-line block ×3, first 2 shown]
	v_lshl_add_u32 v49, v41, 2, 0
	ds_load_b32 v35, v35 offset:256
	ds_load_b32 v38, v36 offset:8064
	;; [unrolled: 1-line block ×8, first 2 shown]
	v_add_nc_u32_e32 v47, s6, v46
	v_lshrrev_b32_e32 v46, 3, v52
	v_lshrrev_b32_e32 v48, 8, v52
	v_add_nc_u32_e32 v44, s6, v50
	v_lshrrev_b32_e32 v49, 3, v43
	v_lshrrev_b32_e32 v50, 8, v43
	v_and_b32_e32 v45, 31, v52
	v_and_b32_e32 v46, 0x7c, v46
	;; [unrolled: 1-line block ×6, first 2 shown]
	v_lshl_add_u32 v45, v45, 2, 0
	v_add_nc_u32_e32 v52, s6, v46
	v_add_nc_u32_e32 v53, s6, v48
	v_lshl_add_u32 v54, v43, 2, 0
	v_add_nc_u32_e32 v55, s6, v49
	v_add_nc_u32_e32 v56, s6, v50
	ds_load_b32 v46, v44 offset:128
	ds_load_b32 v43, v47 offset:256
	;; [unrolled: 1-line block ×8, first 2 shown]
	global_wb scope:SCOPE_SE
	s_wait_dscnt 0x0
	s_barrier_signal -1
	s_barrier_wait -1
	global_inv scope:SCOPE_SE
	s_and_saveexec_b32 s6, vcc_lo
	s_cbranch_execz .LBB0_24
; %bb.23:
	v_mul_i32_i24_e32 v51, 7, v51
	v_mov_b32_e32 v52, 0
	v_lshrrev_b32_e32 v58, 16, v30
	v_lshrrev_b32_e32 v59, 16, v29
	;; [unrolled: 1-line block ×4, first 2 shown]
	v_lshlrev_b64_e32 v[51:52], 2, v[51:52]
	v_lshrrev_b32_e32 v64, 16, v33
	v_lshrrev_b32_e32 v65, 16, v34
	;; [unrolled: 1-line block ×5, first 2 shown]
	v_add_co_u32 v55, vcc_lo, s22, v51
	s_wait_alu 0xfffd
	v_add_co_ci_u32_e32 v56, vcc_lo, s23, v52, vcc_lo
	v_lshrrev_b32_e32 v71, 16, v41
	v_lshrrev_b32_e32 v73, 16, v42
	s_clause 0x1
	global_load_b128 v[51:54], v[55:56], off offset:144
	global_load_b96 v[55:57], v[55:56], off offset:160
	v_lshrrev_b32_e32 v74, 16, v46
	v_lshrrev_b32_e32 v78, 16, v47
	;; [unrolled: 1-line block ×5, first 2 shown]
	v_mul_f16_e32 v84, v73, v74
	v_mul_f16_e32 v74, v42, v74
	;; [unrolled: 1-line block ×14, first 2 shown]
	v_lshrrev_b32_e32 v60, 16, v22
	v_lshrrev_b32_e32 v63, 16, v28
	;; [unrolled: 1-line block ×7, first 2 shown]
	v_mul_f16_e32 v82, v76, v77
	v_mul_f16_e32 v77, v49, v77
	v_fma_f16 v47, v47, v48, -v83
	v_fmac_f16_e32 v79, v78, v48
	v_fma_f16 v42, v42, v46, -v84
	v_fmac_f16_e32 v74, v73, v46
	;; [unrolled: 2-line block ×6, first 2 shown]
	v_fmac_f16_e32 v59, v58, v29
	v_lshrrev_b32_e32 v81, 16, v45
	v_fma_f16 v49, v49, v50, -v82
	v_fmac_f16_e32 v77, v76, v50
	v_fma_f16 v30, v30, v29, -v89
	v_mul_f16_e32 v34, v79, v80
	v_mul_f16_e32 v39, v47, v80
	;; [unrolled: 1-line block ×16, first 2 shown]
	v_fma_f16 v34, v44, v47, -v34
	v_fmac_f16_e32 v39, v44, v79
	v_fma_f16 v41, v43, v42, -v41
	v_fmac_f16_e32 v46, v43, v74
	;; [unrolled: 2-line block ×6, first 2 shown]
	v_fma_f16 v28, v22, v30, -v69
	v_fma_f16 v29, v45, v49, -v29
	v_fmac_f16_e32 v32, v45, v77
	v_fmac_f16_e32 v60, v22, v59
	s_wait_loadcnt 0x1
	v_lshrrev_b32_e32 v30, 16, v51
	v_lshrrev_b32_e32 v35, 16, v52
	;; [unrolled: 1-line block ×3, first 2 shown]
	s_wait_loadcnt 0x0
	v_lshrrev_b32_e32 v38, 16, v55
	v_lshrrev_b32_e32 v42, 16, v54
	;; [unrolled: 1-line block ×4, first 2 shown]
	v_mul_f16_e32 v45, v20, v30
	v_mul_f16_e32 v47, v25, v38
	;; [unrolled: 1-line block ×14, first 2 shown]
	v_fma_f16 v2, v2, v51, -v45
	v_fma_f16 v4, v4, v55, -v47
	v_fmac_f16_e32 v48, v21, v53
	v_fmac_f16_e32 v49, v27, v57
	;; [unrolled: 1-line block ×3, first 2 shown]
	v_fma_f16 v3, v3, v52, -v62
	v_fma_f16 v5, v5, v56, -v64
	v_fmac_f16_e32 v30, v20, v51
	v_fmac_f16_e32 v38, v25, v55
	v_fma_f16 v0, v0, v53, -v36
	v_fma_f16 v20, v26, v57, -v43
	;; [unrolled: 1-line block ×3, first 2 shown]
	v_fmac_f16_e32 v35, v19, v52
	v_fmac_f16_e32 v44, v24, v56
	v_sub_f16_e32 v4, v2, v4
	v_sub_f16_e32 v19, v48, v49
	;; [unrolled: 1-line block ×9, first 2 shown]
	v_add_f16_e32 v25, v21, v5
	v_add_f16_e32 v26, v23, v20
	v_fma_f16 v18, v18, 2.0, -v21
	v_sub_f16_e32 v27, v1, v24
	v_fma_f16 v24, v35, 2.0, -v24
	v_fma_f16 v2, v2, 2.0, -v4
	v_fma_f16 v0, v0, 2.0, -v20
	v_fma_f16 v17, v17, 2.0, -v1
	v_fma_f16 v3, v3, 2.0, -v5
	v_fma_f16 v5, v30, 2.0, -v23
	v_fma_f16 v19, v48, 2.0, -v19
	v_fmamk_f16 v20, v26, 0x39a8, v25
	v_fmamk_f16 v30, v22, 0x39a8, v27
	v_sub_f16_e32 v24, v18, v24
	v_sub_f16_e32 v0, v2, v0
	;; [unrolled: 1-line block ×4, first 2 shown]
	v_fma_f16 v4, v4, 2.0, -v22
	v_fma_f16 v21, v21, 2.0, -v25
	;; [unrolled: 1-line block ×4, first 2 shown]
	v_fmac_f16_e32 v20, 0x39a8, v22
	v_fmac_f16_e32 v30, 0xb9a8, v26
	v_add_f16_e32 v22, v24, v0
	v_fmamk_f16 v35, v23, 0xb9a8, v21
	v_fmamk_f16 v36, v4, 0xb9a8, v1
	v_fma_f16 v18, v18, 2.0, -v24
	v_fma_f16 v5, v5, 2.0, -v19
	;; [unrolled: 1-line block ×4, first 2 shown]
	v_sub_f16_e32 v26, v3, v19
	v_mul_f16_e32 v2, v30, v32
	v_mul_f16_e32 v19, v20, v32
	;; [unrolled: 1-line block ×3, first 2 shown]
	v_fmac_f16_e32 v35, 0x39a8, v4
	v_fmac_f16_e32 v36, 0xb9a8, v23
	v_sub_f16_e32 v4, v18, v5
	v_sub_f16_e32 v0, v17, v0
	v_fma_f16 v5, v25, 2.0, -v20
	v_fma_f16 v23, v27, 2.0, -v30
	v_mul_f16_e32 v32, v26, v39
	v_fma_f16 v3, v3, 2.0, -v26
	v_fma_f16 v24, v24, 2.0, -v22
	v_fmac_f16_e32 v2, v20, v29
	v_fma_f16 v19, v30, v29, -v19
	v_fma_f16 v20, v26, v34, -v38
	v_mul_f16_e32 v26, v0, v50
	v_mul_f16_e32 v29, v23, v61
	;; [unrolled: 1-line block ×3, first 2 shown]
	v_fma_f16 v21, v21, 2.0, -v35
	v_fma_f16 v1, v1, 2.0, -v36
	v_fmac_f16_e32 v32, v22, v34
	v_mul_f16_e32 v27, v4, v50
	v_mul_f16_e32 v34, v3, v66
	v_fma_f16 v18, v18, 2.0, -v4
	v_fma_f16 v17, v17, 2.0, -v0
	v_mul_f16_e32 v22, v36, v46
	v_mul_f16_e32 v25, v35, v46
	;; [unrolled: 1-line block ×3, first 2 shown]
	v_fmac_f16_e32 v26, v4, v40
	v_fmac_f16_e32 v29, v5, v37
	v_fma_f16 v4, v23, v37, -v30
	v_mul_f16_e32 v5, v1, v63
	v_mul_f16_e32 v23, v21, v63
	v_fma_f16 v0, v0, v40, -v27
	v_fmac_f16_e32 v34, v24, v33
	v_mul_f16_e32 v24, v17, v60
	v_mul_f16_e32 v27, v18, v60
	v_fmac_f16_e32 v22, v35, v41
	v_fma_f16 v25, v36, v41, -v25
	v_fma_f16 v3, v3, v33, -v38
	v_fmac_f16_e32 v5, v21, v31
	v_fma_f16 v1, v1, v31, -v23
	v_fmac_f16_e32 v24, v18, v28
	v_fma_f16 v17, v17, v28, -v27
	v_pack_b32_f16 v4, v4, v29
	v_pack_b32_f16 v0, v0, v26
	;; [unrolled: 1-line block ×8, first 2 shown]
	ds_store_2addr_b32 v15, v4, v0 offset0:126 offset1:168
	ds_store_2addr_b32 v15, v18, v20 offset0:210 offset1:252
	;; [unrolled: 1-line block ×3, first 2 shown]
	ds_store_b32 v16, v5
	ds_store_b32 v15, v2 offset:1176
.LBB0_24:
	s_wait_alu 0xfffe
	s_or_b32 exec_lo, exec_lo, s6
	global_wb scope:SCOPE_SE
	s_wait_dscnt 0x0
	s_barrier_signal -1
	s_barrier_wait -1
	global_inv scope:SCOPE_SE
	s_and_saveexec_b32 s6, s26
	s_cbranch_execz .LBB0_26
; %bb.25:
	v_mad_co_u64_u32 v[0:1], null, s14, v12, 0
	v_mad_co_u64_u32 v[2:3], null, s12, v11, 0
	v_add3_u32 v17, 0, v14, v13
	s_mul_u64 s[0:1], s[0:1], s[20:21]
	s_lshl_b64 s[4:5], s[4:5], 2
	s_wait_alu 0xfffe
	s_lshl_b64 s[0:1], s[0:1], 2
	s_wait_alu 0xfffe
	s_add_nc_u64 s[0:1], s[2:3], s[0:1]
	v_mad_co_u64_u32 v[4:5], null, s15, v12, v[1:2]
	v_mad_co_u64_u32 v[12:13], null, s12, v10, 0
	s_wait_alu 0xfffe
	s_add_nc_u64 s[0:1], s[0:1], s[4:5]
	s_delay_alu instid0(VALU_DEP_2) | instskip(NEXT) | instid1(VALU_DEP_2)
	v_mad_co_u64_u32 v[14:15], null, s13, v11, v[3:4]
	v_mov_b32_e32 v11, v13
	v_mad_co_u64_u32 v[15:16], null, s12, v8, 0
	v_mov_b32_e32 v1, v4
	ds_load_2addr_b32 v[4:5], v17 offset1:56
	v_mad_co_u64_u32 v[10:11], null, s13, v10, v[11:12]
	s_delay_alu instid0(VALU_DEP_1) | instskip(SKIP_3) | instid1(VALU_DEP_2)
	v_mov_b32_e32 v13, v10
	v_mad_co_u64_u32 v[10:11], null, s12, v7, 0
	v_dual_mov_b32 v3, v14 :: v_dual_mov_b32 v14, v16
	v_lshlrev_b64_e32 v[0:1], 2, v[0:1]
	v_lshlrev_b64_e32 v[2:3], 2, v[2:3]
	s_wait_alu 0xfffe
	s_delay_alu instid0(VALU_DEP_2) | instskip(SKIP_1) | instid1(VALU_DEP_3)
	v_add_co_u32 v19, vcc_lo, s0, v0
	s_wait_alu 0xfffd
	v_add_co_ci_u32_e32 v20, vcc_lo, s1, v1, vcc_lo
	v_mad_co_u64_u32 v[0:1], null, s12, v9, 0
	s_delay_alu instid0(VALU_DEP_3) | instskip(SKIP_1) | instid1(VALU_DEP_3)
	v_add_co_u32 v2, vcc_lo, v19, v2
	s_wait_alu 0xfffd
	v_add_co_ci_u32_e32 v3, vcc_lo, v20, v3, vcc_lo
	s_wait_dscnt 0x0
	global_store_b32 v[2:3], v4, off
	v_mov_b32_e32 v4, v11
	v_lshlrev_b64_e32 v[2:3], 2, v[12:13]
	v_mad_co_u64_u32 v[12:13], null, s13, v8, v[14:15]
	v_mad_co_u64_u32 v[13:14], null, s12, v6, 0
	s_delay_alu instid0(VALU_DEP_3) | instskip(SKIP_1) | instid1(VALU_DEP_4)
	v_mad_co_u64_u32 v[8:9], null, s13, v9, v[1:2]
	v_add_co_u32 v2, vcc_lo, v19, v2
	v_mov_b32_e32 v16, v12
	v_add_nc_u32_e32 v12, 0x200, v17
	s_wait_alu 0xfffd
	v_add_co_ci_u32_e32 v3, vcc_lo, v20, v3, vcc_lo
	v_mov_b32_e32 v1, v8
	v_mad_co_u64_u32 v[7:8], null, s13, v7, v[4:5]
	v_mov_b32_e32 v4, v14
	ds_load_2addr_b32 v[8:9], v17 offset0:112 offset1:168
	v_lshlrev_b64_e32 v[14:15], 2, v[15:16]
	v_lshlrev_b64_e32 v[0:1], 2, v[0:1]
	v_mad_co_u64_u32 v[16:17], null, s13, v6, v[4:5]
	v_mov_b32_e32 v11, v7
	ds_load_2addr_b32 v[6:7], v12 offset0:96 offset1:152
	v_add_co_u32 v17, vcc_lo, v19, v14
	s_wait_alu 0xfffd
	v_add_co_ci_u32_e32 v18, vcc_lo, v20, v15, vcc_lo
	v_mov_b32_e32 v14, v16
	v_lshlrev_b64_e32 v[10:11], 2, v[10:11]
	v_add_co_u32 v0, vcc_lo, v19, v0
	s_wait_alu 0xfffd
	v_add_co_ci_u32_e32 v1, vcc_lo, v20, v1, vcc_lo
	v_lshlrev_b64_e32 v[12:13], 2, v[13:14]
	s_delay_alu instid0(VALU_DEP_4) | instskip(SKIP_2) | instid1(VALU_DEP_3)
	v_add_co_u32 v10, vcc_lo, v19, v10
	s_wait_alu 0xfffd
	v_add_co_ci_u32_e32 v11, vcc_lo, v20, v11, vcc_lo
	v_add_co_u32 v12, vcc_lo, v19, v12
	s_wait_alu 0xfffd
	v_add_co_ci_u32_e32 v13, vcc_lo, v20, v13, vcc_lo
	global_store_b32 v[2:3], v5, off
	s_wait_dscnt 0x1
	s_clause 0x1
	global_store_b32 v[17:18], v8, off
	global_store_b32 v[0:1], v9, off
	s_wait_dscnt 0x0
	s_clause 0x1
	global_store_b32 v[10:11], v6, off
	global_store_b32 v[12:13], v7, off
.LBB0_26:
	s_nop 0
	s_sendmsg sendmsg(MSG_DEALLOC_VGPRS)
	s_endpgm
	.section	.rodata,"a",@progbits
	.p2align	6, 0x0
	.amdhsa_kernel fft_rtc_fwd_len336_factors_6_7_8_wgs_336_tpt_56_half_op_CI_CI_sbcc_twdbase5_3step
		.amdhsa_group_segment_fixed_size 0
		.amdhsa_private_segment_fixed_size 0
		.amdhsa_kernarg_size 112
		.amdhsa_user_sgpr_count 2
		.amdhsa_user_sgpr_dispatch_ptr 0
		.amdhsa_user_sgpr_queue_ptr 0
		.amdhsa_user_sgpr_kernarg_segment_ptr 1
		.amdhsa_user_sgpr_dispatch_id 0
		.amdhsa_user_sgpr_private_segment_size 0
		.amdhsa_wavefront_size32 1
		.amdhsa_uses_dynamic_stack 0
		.amdhsa_enable_private_segment 0
		.amdhsa_system_sgpr_workgroup_id_x 1
		.amdhsa_system_sgpr_workgroup_id_y 0
		.amdhsa_system_sgpr_workgroup_id_z 0
		.amdhsa_system_sgpr_workgroup_info 0
		.amdhsa_system_vgpr_workitem_id 0
		.amdhsa_next_free_vgpr 90
		.amdhsa_next_free_sgpr 59
		.amdhsa_reserve_vcc 1
		.amdhsa_float_round_mode_32 0
		.amdhsa_float_round_mode_16_64 0
		.amdhsa_float_denorm_mode_32 3
		.amdhsa_float_denorm_mode_16_64 3
		.amdhsa_fp16_overflow 0
		.amdhsa_workgroup_processor_mode 1
		.amdhsa_memory_ordered 1
		.amdhsa_forward_progress 0
		.amdhsa_round_robin_scheduling 0
		.amdhsa_exception_fp_ieee_invalid_op 0
		.amdhsa_exception_fp_denorm_src 0
		.amdhsa_exception_fp_ieee_div_zero 0
		.amdhsa_exception_fp_ieee_overflow 0
		.amdhsa_exception_fp_ieee_underflow 0
		.amdhsa_exception_fp_ieee_inexact 0
		.amdhsa_exception_int_div_zero 0
	.end_amdhsa_kernel
	.text
.Lfunc_end0:
	.size	fft_rtc_fwd_len336_factors_6_7_8_wgs_336_tpt_56_half_op_CI_CI_sbcc_twdbase5_3step, .Lfunc_end0-fft_rtc_fwd_len336_factors_6_7_8_wgs_336_tpt_56_half_op_CI_CI_sbcc_twdbase5_3step
                                        ; -- End function
	.section	.AMDGPU.csdata,"",@progbits
; Kernel info:
; codeLenInByte = 6904
; NumSgprs: 61
; NumVgprs: 90
; ScratchSize: 0
; MemoryBound: 0
; FloatMode: 240
; IeeeMode: 1
; LDSByteSize: 0 bytes/workgroup (compile time only)
; SGPRBlocks: 7
; VGPRBlocks: 11
; NumSGPRsForWavesPerEU: 61
; NumVGPRsForWavesPerEU: 90
; Occupancy: 14
; WaveLimiterHint : 1
; COMPUTE_PGM_RSRC2:SCRATCH_EN: 0
; COMPUTE_PGM_RSRC2:USER_SGPR: 2
; COMPUTE_PGM_RSRC2:TRAP_HANDLER: 0
; COMPUTE_PGM_RSRC2:TGID_X_EN: 1
; COMPUTE_PGM_RSRC2:TGID_Y_EN: 0
; COMPUTE_PGM_RSRC2:TGID_Z_EN: 0
; COMPUTE_PGM_RSRC2:TIDIG_COMP_CNT: 0
	.text
	.p2alignl 7, 3214868480
	.fill 96, 4, 3214868480
	.type	__hip_cuid_970e71c5da644fb6,@object ; @__hip_cuid_970e71c5da644fb6
	.section	.bss,"aw",@nobits
	.globl	__hip_cuid_970e71c5da644fb6
__hip_cuid_970e71c5da644fb6:
	.byte	0                               ; 0x0
	.size	__hip_cuid_970e71c5da644fb6, 1

	.ident	"AMD clang version 19.0.0git (https://github.com/RadeonOpenCompute/llvm-project roc-6.4.0 25133 c7fe45cf4b819c5991fe208aaa96edf142730f1d)"
	.section	".note.GNU-stack","",@progbits
	.addrsig
	.addrsig_sym __hip_cuid_970e71c5da644fb6
	.amdgpu_metadata
---
amdhsa.kernels:
  - .args:
      - .actual_access:  read_only
        .address_space:  global
        .offset:         0
        .size:           8
        .value_kind:     global_buffer
      - .address_space:  global
        .offset:         8
        .size:           8
        .value_kind:     global_buffer
      - .offset:         16
        .size:           8
        .value_kind:     by_value
      - .actual_access:  read_only
        .address_space:  global
        .offset:         24
        .size:           8
        .value_kind:     global_buffer
      - .actual_access:  read_only
        .address_space:  global
        .offset:         32
        .size:           8
        .value_kind:     global_buffer
      - .actual_access:  read_only
        .address_space:  global
        .offset:         40
        .size:           8
        .value_kind:     global_buffer
      - .offset:         48
        .size:           8
        .value_kind:     by_value
      - .actual_access:  read_only
        .address_space:  global
        .offset:         56
        .size:           8
        .value_kind:     global_buffer
      - .actual_access:  read_only
        .address_space:  global
        .offset:         64
        .size:           8
        .value_kind:     global_buffer
      - .offset:         72
        .size:           4
        .value_kind:     by_value
      - .actual_access:  read_only
        .address_space:  global
        .offset:         80
        .size:           8
        .value_kind:     global_buffer
      - .actual_access:  read_only
        .address_space:  global
        .offset:         88
        .size:           8
        .value_kind:     global_buffer
      - .actual_access:  read_only
        .address_space:  global
        .offset:         96
        .size:           8
        .value_kind:     global_buffer
      - .actual_access:  write_only
        .address_space:  global
        .offset:         104
        .size:           8
        .value_kind:     global_buffer
    .group_segment_fixed_size: 0
    .kernarg_segment_align: 8
    .kernarg_segment_size: 112
    .language:       OpenCL C
    .language_version:
      - 2
      - 0
    .max_flat_workgroup_size: 336
    .name:           fft_rtc_fwd_len336_factors_6_7_8_wgs_336_tpt_56_half_op_CI_CI_sbcc_twdbase5_3step
    .private_segment_fixed_size: 0
    .sgpr_count:     61
    .sgpr_spill_count: 0
    .symbol:         fft_rtc_fwd_len336_factors_6_7_8_wgs_336_tpt_56_half_op_CI_CI_sbcc_twdbase5_3step.kd
    .uniform_work_group_size: 1
    .uses_dynamic_stack: false
    .vgpr_count:     90
    .vgpr_spill_count: 0
    .wavefront_size: 32
    .workgroup_processor_mode: 1
amdhsa.target:   amdgcn-amd-amdhsa--gfx1201
amdhsa.version:
  - 1
  - 2
...

	.end_amdgpu_metadata
